;; amdgpu-corpus repo=ROCm/rocFFT kind=compiled arch=gfx1100 opt=O3
	.text
	.amdgcn_target "amdgcn-amd-amdhsa--gfx1100"
	.amdhsa_code_object_version 6
	.protected	fft_rtc_back_len128_factors_16_8_wgs_256_tpt_16_sp_op_CI_CI_sbcc_twdbase8_3step_dirReg_intrinsicReadWrite ; -- Begin function fft_rtc_back_len128_factors_16_8_wgs_256_tpt_16_sp_op_CI_CI_sbcc_twdbase8_3step_dirReg_intrinsicReadWrite
	.globl	fft_rtc_back_len128_factors_16_8_wgs_256_tpt_16_sp_op_CI_CI_sbcc_twdbase8_3step_dirReg_intrinsicReadWrite
	.p2align	8
	.type	fft_rtc_back_len128_factors_16_8_wgs_256_tpt_16_sp_op_CI_CI_sbcc_twdbase8_3step_dirReg_intrinsicReadWrite,@function
fft_rtc_back_len128_factors_16_8_wgs_256_tpt_16_sp_op_CI_CI_sbcc_twdbase8_3step_dirReg_intrinsicReadWrite: ; @fft_rtc_back_len128_factors_16_8_wgs_256_tpt_16_sp_op_CI_CI_sbcc_twdbase8_3step_dirReg_intrinsicReadWrite
; %bb.0:
	s_clause 0x1
	s_load_b128 s[20:23], s[0:1], 0x18
	s_load_b64 s[28:29], s[0:1], 0x28
	s_mov_b32 s30, s15
	s_mov_b32 s31, 0
	s_waitcnt lgkmcnt(0)
	s_load_b64 s[26:27], s[20:21], 0x8
	s_waitcnt lgkmcnt(0)
	s_add_u32 s2, s26, -1
	s_addc_u32 s3, s27, -1
	s_delay_alu instid0(SALU_CYCLE_1) | instskip(NEXT) | instid1(SALU_CYCLE_1)
	s_lshr_b64 s[2:3], s[2:3], 4
	s_add_u32 s34, s2, 1
	s_addc_u32 s35, s3, 0
	s_delay_alu instid0(SALU_CYCLE_1) | instskip(NEXT) | instid1(VALU_DEP_1)
	v_cmp_lt_u64_e64 s2, s[30:31], s[34:35]
	s_and_b32 vcc_lo, exec_lo, s2
	s_mov_b64 s[2:3], 0
	s_cbranch_vccnz .LBB0_2
; %bb.1:
	v_cvt_f32_u32_e32 v1, s34
	s_sub_i32 s3, 0, s34
	s_delay_alu instid0(VALU_DEP_1) | instskip(SKIP_2) | instid1(VALU_DEP_1)
	v_rcp_iflag_f32_e32 v1, v1
	s_waitcnt_depctr 0xfff
	v_mul_f32_e32 v1, 0x4f7ffffe, v1
	v_cvt_u32_f32_e32 v1, v1
	s_delay_alu instid0(VALU_DEP_1) | instskip(NEXT) | instid1(VALU_DEP_1)
	v_readfirstlane_b32 s2, v1
	s_mul_i32 s3, s3, s2
	s_delay_alu instid0(SALU_CYCLE_1) | instskip(NEXT) | instid1(SALU_CYCLE_1)
	s_mul_hi_u32 s3, s2, s3
	s_add_i32 s2, s2, s3
	s_delay_alu instid0(SALU_CYCLE_1) | instskip(NEXT) | instid1(SALU_CYCLE_1)
	s_mul_hi_u32 s2, s30, s2
	s_mul_i32 s3, s2, s34
	s_add_i32 s4, s2, 1
	s_sub_i32 s3, s30, s3
	s_delay_alu instid0(SALU_CYCLE_1)
	s_sub_i32 s5, s3, s34
	s_cmp_ge_u32 s3, s34
	s_cselect_b32 s2, s4, s2
	s_cselect_b32 s3, s5, s3
	s_add_i32 s4, s2, 1
	s_cmp_ge_u32 s3, s34
	s_mov_b32 s3, s31
	s_cselect_b32 s2, s4, s2
.LBB0_2:
	s_load_b128 s[16:19], s[22:23], 0x0
	s_load_b128 s[8:11], s[28:29], 0x0
	;; [unrolled: 1-line block ×3, first 2 shown]
	s_mul_i32 s4, s2, s35
	s_mul_hi_u32 s5, s2, s34
	s_mul_i32 s6, s2, s34
	s_add_i32 s5, s5, s4
	s_sub_u32 s36, s30, s6
	s_subb_u32 s37, 0, s5
	s_clause 0x1
	s_load_b64 s[24:25], s[0:1], 0x0
	s_load_b128 s[4:7], s[0:1], 0x60
	v_alignbit_b32 v1, s37, s36, 28
	s_lshl_b64 s[0:1], s[36:37], 4
	s_waitcnt lgkmcnt(0)
	s_delay_alu instid0(VALU_DEP_1)
	v_mul_lo_u32 v2, s18, v1
	v_mul_lo_u32 v1, s10, v1
	s_mul_hi_u32 s9, s18, s0
	s_mul_hi_u32 s36, s10, s0
	s_mul_i32 s33, s18, s0
	v_cmp_lt_u64_e64 s37, s[14:15], 3
	s_mul_i32 s17, s19, s0
	s_mul_i32 s11, s11, s0
	v_add_nc_u32_e32 v2, s9, v2
	s_mul_i32 s9, s10, s0
	s_delay_alu instid0(SALU_CYCLE_1) | instskip(NEXT) | instid1(VALU_DEP_2)
	v_dual_mov_b32 v36, s9 :: v_dual_add_nc_u32 v3, s36, v1
	v_dual_mov_b32 v1, s33 :: v_dual_add_nc_u32 v2, s17, v2
	s_and_b32 vcc_lo, exec_lo, s37
	s_delay_alu instid0(VALU_DEP_2)
	v_add_nc_u32_e32 v3, s11, v3
	s_cbranch_vccnz .LBB0_11
; %bb.3:
	s_add_u32 s36, s28, 16
	s_addc_u32 s37, s29, 0
	s_add_u32 s38, s22, 16
	s_addc_u32 s39, s23, 0
	;; [unrolled: 2-line block ×3, first 2 shown]
	s_mov_b64 s[40:41], 2
	s_mov_b32 s42, 0
	s_branch .LBB0_5
.LBB0_4:                                ;   in Loop: Header=BB0_5 Depth=1
	s_load_b64 s[48:49], s[38:39], 0x0
	s_load_b64 s[50:51], s[36:37], 0x0
	s_mul_i32 s9, s44, s35
	s_mul_hi_u32 s11, s44, s34
	s_mul_i32 s33, s46, s45
	s_mul_hi_u32 s35, s46, s44
	s_mul_i32 s17, s45, s34
	s_mul_i32 s43, s47, s44
	s_add_i32 s9, s11, s9
	s_add_i32 s11, s35, s33
	s_mul_i32 s45, s46, s44
	s_add_i32 s35, s9, s17
	s_add_i32 s11, s11, s43
	s_sub_u32 s2, s2, s45
	s_subb_u32 s3, s3, s11
	s_mul_i32 s34, s44, s34
	s_waitcnt lgkmcnt(0)
	s_mul_i32 s9, s48, s3
	s_mul_hi_u32 s11, s48, s2
	s_mul_i32 s3, s50, s3
	s_mul_hi_u32 s43, s50, s2
	s_mul_i32 s17, s49, s2
	s_add_i32 s9, s11, s9
	s_add_i32 s3, s43, s3
	s_mul_i32 s11, s51, s2
	s_mul_i32 s33, s48, s2
	s_add_i32 s9, s9, s17
	s_add_i32 s3, s3, s11
	v_add_co_u32 v1, vcc_lo, s33, v1
	s_add_u32 s40, s40, 1
	s_mul_i32 s2, s50, s2
	s_addc_u32 s41, s41, 0
	v_add_co_ci_u32_e32 v2, vcc_lo, s9, v2, vcc_lo
	v_add_co_u32 v36, vcc_lo, s2, v36
	v_cmp_ge_u64_e64 s2, s[40:41], s[14:15]
	s_add_u32 s36, s36, 8
	s_addc_u32 s37, s37, 0
	v_add_co_ci_u32_e32 v3, vcc_lo, s3, v3, vcc_lo
	s_add_u32 s38, s38, 8
	s_addc_u32 s39, s39, 0
	s_add_u32 s20, s20, 8
	s_addc_u32 s21, s21, 0
	s_and_b32 vcc_lo, exec_lo, s2
	s_mov_b64 s[2:3], s[46:47]
	s_cbranch_vccnz .LBB0_9
.LBB0_5:                                ; =>This Inner Loop Header: Depth=1
	s_load_b64 s[44:45], s[20:21], 0x0
	s_mov_b32 s9, -1
	s_waitcnt lgkmcnt(0)
	s_or_b64 s[46:47], s[2:3], s[44:45]
	s_delay_alu instid0(SALU_CYCLE_1) | instskip(NEXT) | instid1(SALU_CYCLE_1)
	s_mov_b32 s43, s47
                                        ; implicit-def: $sgpr46_sgpr47
	s_cmp_lg_u64 s[42:43], 0
	s_cbranch_scc0 .LBB0_7
; %bb.6:                                ;   in Loop: Header=BB0_5 Depth=1
	v_cvt_f32_u32_e32 v4, s44
	v_cvt_f32_u32_e32 v5, s45
	s_sub_u32 s17, 0, s44
	s_subb_u32 s33, 0, s45
	s_delay_alu instid0(VALU_DEP_1) | instskip(NEXT) | instid1(VALU_DEP_1)
	v_fmac_f32_e32 v4, 0x4f800000, v5
	v_rcp_f32_e32 v4, v4
	s_waitcnt_depctr 0xfff
	v_mul_f32_e32 v4, 0x5f7ffffc, v4
	s_delay_alu instid0(VALU_DEP_1) | instskip(NEXT) | instid1(VALU_DEP_1)
	v_mul_f32_e32 v5, 0x2f800000, v4
	v_trunc_f32_e32 v5, v5
	s_delay_alu instid0(VALU_DEP_1) | instskip(SKIP_1) | instid1(VALU_DEP_2)
	v_fmac_f32_e32 v4, 0xcf800000, v5
	v_cvt_u32_f32_e32 v5, v5
	v_cvt_u32_f32_e32 v4, v4
	s_delay_alu instid0(VALU_DEP_2) | instskip(NEXT) | instid1(VALU_DEP_2)
	v_readfirstlane_b32 s9, v5
	v_readfirstlane_b32 s11, v4
	s_delay_alu instid0(VALU_DEP_2) | instskip(NEXT) | instid1(VALU_DEP_1)
	s_mul_i32 s43, s17, s9
	s_mul_hi_u32 s47, s17, s11
	s_mul_i32 s46, s33, s11
	s_add_i32 s43, s47, s43
	s_mul_i32 s48, s17, s11
	s_add_i32 s43, s43, s46
	s_mul_hi_u32 s47, s11, s48
	s_mul_hi_u32 s49, s9, s48
	s_mul_i32 s46, s9, s48
	s_mul_hi_u32 s48, s11, s43
	s_mul_i32 s11, s11, s43
	s_mul_hi_u32 s50, s9, s43
	s_add_u32 s11, s47, s11
	s_addc_u32 s47, 0, s48
	s_add_u32 s11, s11, s46
	s_mul_i32 s43, s9, s43
	s_addc_u32 s11, s47, s49
	s_addc_u32 s46, s50, 0
	s_add_u32 s11, s11, s43
	s_addc_u32 s43, 0, s46
	v_add_co_u32 v4, s11, v4, s11
	s_delay_alu instid0(VALU_DEP_1) | instskip(SKIP_1) | instid1(VALU_DEP_1)
	s_cmp_lg_u32 s11, 0
	s_addc_u32 s9, s9, s43
	v_readfirstlane_b32 s11, v4
	s_mul_i32 s43, s17, s9
	s_delay_alu instid0(VALU_DEP_1)
	s_mul_hi_u32 s46, s17, s11
	s_mul_i32 s33, s33, s11
	s_add_i32 s43, s46, s43
	s_mul_i32 s17, s17, s11
	s_add_i32 s43, s43, s33
	s_mul_hi_u32 s46, s9, s17
	s_mul_i32 s47, s9, s17
	s_mul_hi_u32 s17, s11, s17
	s_mul_hi_u32 s48, s11, s43
	s_mul_i32 s11, s11, s43
	s_mul_hi_u32 s33, s9, s43
	s_add_u32 s11, s17, s11
	s_addc_u32 s17, 0, s48
	s_add_u32 s11, s11, s47
	s_mul_i32 s43, s9, s43
	s_addc_u32 s11, s17, s46
	s_addc_u32 s17, s33, 0
	s_add_u32 s11, s11, s43
	s_addc_u32 s17, 0, s17
	v_add_co_u32 v4, s11, v4, s11
	s_delay_alu instid0(VALU_DEP_1) | instskip(SKIP_1) | instid1(VALU_DEP_1)
	s_cmp_lg_u32 s11, 0
	s_addc_u32 s9, s9, s17
	v_readfirstlane_b32 s11, v4
	s_mul_i32 s33, s2, s9
	s_mul_hi_u32 s17, s2, s9
	s_mul_hi_u32 s43, s3, s9
	s_mul_i32 s9, s3, s9
	s_mul_hi_u32 s46, s2, s11
	s_mul_hi_u32 s47, s3, s11
	s_mul_i32 s11, s3, s11
	s_add_u32 s33, s46, s33
	s_addc_u32 s17, 0, s17
	s_add_u32 s11, s33, s11
	s_addc_u32 s11, s17, s47
	s_addc_u32 s17, s43, 0
	s_add_u32 s11, s11, s9
	s_addc_u32 s17, 0, s17
	s_mul_hi_u32 s9, s44, s11
	s_mul_i32 s43, s44, s17
	s_mul_i32 s46, s44, s11
	s_add_i32 s9, s9, s43
	v_sub_co_u32 v4, s43, s2, s46
	s_mul_i32 s33, s45, s11
	s_delay_alu instid0(SALU_CYCLE_1) | instskip(NEXT) | instid1(VALU_DEP_1)
	s_add_i32 s9, s9, s33
	v_sub_co_u32 v5, s46, v4, s44
	s_sub_i32 s33, s3, s9
	s_cmp_lg_u32 s43, 0
	s_subb_u32 s33, s33, s45
	s_cmp_lg_u32 s46, 0
	v_readfirstlane_b32 s46, v5
	s_subb_u32 s33, s33, 0
	s_delay_alu instid0(SALU_CYCLE_1) | instskip(SKIP_1) | instid1(VALU_DEP_1)
	s_cmp_ge_u32 s33, s45
	s_cselect_b32 s47, -1, 0
	s_cmp_ge_u32 s46, s44
	s_cselect_b32 s46, -1, 0
	s_cmp_eq_u32 s33, s45
	s_cselect_b32 s33, s46, s47
	s_add_u32 s46, s11, 1
	s_addc_u32 s47, s17, 0
	s_add_u32 s48, s11, 2
	s_addc_u32 s49, s17, 0
	s_cmp_lg_u32 s33, 0
	s_cselect_b32 s33, s48, s46
	s_cselect_b32 s46, s49, s47
	s_cmp_lg_u32 s43, 0
	v_readfirstlane_b32 s43, v4
	s_subb_u32 s9, s3, s9
	s_delay_alu instid0(SALU_CYCLE_1) | instskip(SKIP_1) | instid1(VALU_DEP_1)
	s_cmp_ge_u32 s9, s45
	s_cselect_b32 s47, -1, 0
	s_cmp_ge_u32 s43, s44
	s_cselect_b32 s43, -1, 0
	s_cmp_eq_u32 s9, s45
	s_cselect_b32 s9, s43, s47
	s_delay_alu instid0(SALU_CYCLE_1)
	s_cmp_lg_u32 s9, 0
	s_mov_b32 s9, 0
	s_cselect_b32 s47, s46, s17
	s_cselect_b32 s46, s33, s11
.LBB0_7:                                ;   in Loop: Header=BB0_5 Depth=1
	s_and_not1_b32 vcc_lo, exec_lo, s9
	s_cbranch_vccnz .LBB0_4
; %bb.8:                                ;   in Loop: Header=BB0_5 Depth=1
	v_cvt_f32_u32_e32 v4, s44
	s_sub_i32 s11, 0, s44
	s_mov_b32 s47, s42
	s_delay_alu instid0(VALU_DEP_1) | instskip(SKIP_2) | instid1(VALU_DEP_1)
	v_rcp_iflag_f32_e32 v4, v4
	s_waitcnt_depctr 0xfff
	v_mul_f32_e32 v4, 0x4f7ffffe, v4
	v_cvt_u32_f32_e32 v4, v4
	s_delay_alu instid0(VALU_DEP_1) | instskip(NEXT) | instid1(VALU_DEP_1)
	v_readfirstlane_b32 s9, v4
	s_mul_i32 s11, s11, s9
	s_delay_alu instid0(SALU_CYCLE_1) | instskip(NEXT) | instid1(SALU_CYCLE_1)
	s_mul_hi_u32 s11, s9, s11
	s_add_i32 s9, s9, s11
	s_delay_alu instid0(SALU_CYCLE_1) | instskip(NEXT) | instid1(SALU_CYCLE_1)
	s_mul_hi_u32 s9, s2, s9
	s_mul_i32 s11, s9, s44
	s_add_i32 s17, s9, 1
	s_sub_i32 s11, s2, s11
	s_delay_alu instid0(SALU_CYCLE_1)
	s_sub_i32 s33, s11, s44
	s_cmp_ge_u32 s11, s44
	s_cselect_b32 s9, s17, s9
	s_cselect_b32 s11, s33, s11
	s_add_i32 s17, s9, 1
	s_cmp_ge_u32 s11, s44
	s_cselect_b32 s46, s17, s9
	s_branch .LBB0_4
.LBB0_9:
	v_cmp_lt_u64_e64 s2, s[30:31], s[34:35]
	s_delay_alu instid0(VALU_DEP_1)
	s_and_b32 vcc_lo, exec_lo, s2
	s_mov_b64 s[2:3], 0
	s_cbranch_vccnz .LBB0_11
; %bb.10:
	v_cvt_f32_u32_e32 v2, s34
	s_sub_i32 s3, 0, s34
	s_delay_alu instid0(VALU_DEP_1) | instskip(SKIP_2) | instid1(VALU_DEP_1)
	v_rcp_iflag_f32_e32 v2, v2
	s_waitcnt_depctr 0xfff
	v_mul_f32_e32 v2, 0x4f7ffffe, v2
	v_cvt_u32_f32_e32 v2, v2
	s_delay_alu instid0(VALU_DEP_1) | instskip(NEXT) | instid1(VALU_DEP_1)
	v_readfirstlane_b32 s2, v2
	s_mul_i32 s3, s3, s2
	s_delay_alu instid0(SALU_CYCLE_1) | instskip(NEXT) | instid1(SALU_CYCLE_1)
	s_mul_hi_u32 s3, s2, s3
	s_add_i32 s2, s2, s3
	s_delay_alu instid0(SALU_CYCLE_1) | instskip(NEXT) | instid1(SALU_CYCLE_1)
	s_mul_hi_u32 s2, s30, s2
	s_mul_i32 s3, s2, s34
	s_add_i32 s9, s2, 1
	s_sub_i32 s3, s30, s3
	s_delay_alu instid0(SALU_CYCLE_1)
	s_sub_i32 s11, s3, s34
	s_cmp_ge_u32 s3, s34
	s_cselect_b32 s2, s9, s2
	s_cselect_b32 s3, s11, s3
	s_add_i32 s9, s2, 1
	s_cmp_ge_u32 s3, s34
	s_cselect_b32 s2, s9, s2
.LBB0_11:
	s_lshl_b64 s[14:15], s[14:15], 3
	v_dual_mov_b32 v6, 0 :: v_dual_and_b32 v37, 15, v0
	s_add_u32 s20, s22, s14
	s_addc_u32 s21, s23, s15
	v_cmp_gt_u32_e32 vcc_lo, 0x80, v0
	s_load_b64 s[20:21], s[20:21], 0x0
	v_or_b32_e32 v4, s0, v37
	v_mad_u64_u32 v[13:14], null, s18, v37, 0
	v_mov_b32_e32 v5, s1
	s_add_u32 s14, s28, s14
	s_addc_u32 s15, s29, s15
	s_add_u32 s22, s0, 16
	v_cndmask_b32_e64 v2, 0, 1, vcc_lo
	v_cmp_gt_u64_e32 vcc_lo, s[26:27], v[4:5]
	s_addc_u32 s23, s1, 0
	v_cmp_lt_u32_e64 s0, 0x7f, v0
	v_cmp_le_u64_e64 s3, s[22:23], s[26:27]
	v_lshrrev_b32_e32 v38, 4, v0
	v_cndmask_b32_e64 v3, 0, 1, vcc_lo
	s_delay_alu instid0(VALU_DEP_3)
	s_or_b32 s0, s0, s3
	s_delay_alu instid0(VALU_DEP_1) | instid1(SALU_CYCLE_1)
	v_cndmask_b32_e64 v3, v3, v2, s0
	v_mov_b32_e32 v2, v14
	s_waitcnt lgkmcnt(0)
	s_mul_i32 s0, s20, s2
	s_delay_alu instid0(VALU_DEP_2) | instskip(SKIP_2) | instid1(VALU_DEP_2)
	v_and_b32_e32 v5, 1, v3
	v_add_co_u32 v3, null, s0, v1
	v_mov_b32_e32 v1, 0
	v_mad_u64_u32 v[7:8], null, s19, v37, v[2:3]
	v_mov_b32_e32 v2, 0
	v_cmp_eq_u32_e64 s0, 1, v5
	s_delay_alu instid0(VALU_DEP_1)
	s_and_saveexec_b32 s9, s0
	s_cbranch_execz .LBB0_13
; %bb.12:
	v_mul_lo_u32 v1, s16, v38
	s_delay_alu instid0(VALU_DEP_1) | instskip(NEXT) | instid1(VALU_DEP_1)
	v_add3_u32 v5, v3, v13, v1
	v_lshlrev_b64 v[1:2], 3, v[5:6]
	s_delay_alu instid0(VALU_DEP_1) | instskip(NEXT) | instid1(VALU_DEP_1)
	v_add_co_u32 v1, s1, s4, v1
	v_add_co_ci_u32_e64 v2, s1, s5, v2, s1
	global_load_b64 v[1:2], v[1:2], off
.LBB0_13:
	s_or_b32 exec_lo, exec_lo, s9
	v_mov_b32_e32 v5, 0
	s_and_saveexec_b32 s9, s0
	s_cbranch_execz .LBB0_15
; %bb.14:
	v_dual_mov_b32 v6, 0 :: v_dual_add_nc_u32 v5, 8, v38
	s_delay_alu instid0(VALU_DEP_1) | instskip(NEXT) | instid1(VALU_DEP_1)
	v_mul_lo_u32 v5, s16, v5
	v_add3_u32 v5, v3, v13, v5
	s_delay_alu instid0(VALU_DEP_1) | instskip(NEXT) | instid1(VALU_DEP_1)
	v_lshlrev_b64 v[5:6], 3, v[5:6]
	v_add_co_u32 v5, s1, s4, v5
	s_delay_alu instid0(VALU_DEP_1)
	v_add_co_ci_u32_e64 v6, s1, s5, v6, s1
	global_load_b64 v[5:6], v[5:6], off
.LBB0_15:
	s_or_b32 exec_lo, exec_lo, s9
	v_dual_mov_b32 v10, 0 :: v_dual_mov_b32 v7, 0
	v_mov_b32_e32 v8, 0
	s_and_saveexec_b32 s9, s0
	s_cbranch_execz .LBB0_17
; %bb.16:
	v_or_b32_e32 v7, 16, v38
	v_mov_b32_e32 v8, 0
	s_delay_alu instid0(VALU_DEP_2) | instskip(NEXT) | instid1(VALU_DEP_1)
	v_mul_lo_u32 v7, s16, v7
	v_add3_u32 v7, v3, v13, v7
	s_delay_alu instid0(VALU_DEP_1) | instskip(NEXT) | instid1(VALU_DEP_1)
	v_lshlrev_b64 v[7:8], 3, v[7:8]
	v_add_co_u32 v7, s1, s4, v7
	s_delay_alu instid0(VALU_DEP_1)
	v_add_co_ci_u32_e64 v8, s1, s5, v8, s1
	global_load_b64 v[7:8], v[7:8], off
.LBB0_17:
	s_or_b32 exec_lo, exec_lo, s9
	v_mov_b32_e32 v9, 0
	s_and_saveexec_b32 s9, s0
	s_cbranch_execz .LBB0_19
; %bb.18:
	v_dual_mov_b32 v10, 0 :: v_dual_add_nc_u32 v9, 24, v38
	s_delay_alu instid0(VALU_DEP_1) | instskip(NEXT) | instid1(VALU_DEP_1)
	v_mul_lo_u32 v9, s16, v9
	v_add3_u32 v9, v3, v13, v9
	s_delay_alu instid0(VALU_DEP_1) | instskip(NEXT) | instid1(VALU_DEP_1)
	v_lshlrev_b64 v[9:10], 3, v[9:10]
	v_add_co_u32 v9, s1, s4, v9
	s_delay_alu instid0(VALU_DEP_1)
	v_add_co_ci_u32_e64 v10, s1, s5, v10, s1
	global_load_b64 v[9:10], v[9:10], off
.LBB0_19:
	s_or_b32 exec_lo, exec_lo, s9
	v_dual_mov_b32 v15, 0 :: v_dual_mov_b32 v12, 0
	v_mov_b32_e32 v11, 0
	s_and_saveexec_b32 s9, s0
	s_cbranch_execz .LBB0_21
; %bb.20:
	v_or_b32_e32 v11, 32, v38
	v_mov_b32_e32 v12, 0
	s_delay_alu instid0(VALU_DEP_2) | instskip(NEXT) | instid1(VALU_DEP_1)
	v_mul_lo_u32 v11, s16, v11
	v_add3_u32 v11, v3, v13, v11
	s_delay_alu instid0(VALU_DEP_1) | instskip(NEXT) | instid1(VALU_DEP_1)
	v_lshlrev_b64 v[11:12], 3, v[11:12]
	v_add_co_u32 v11, s1, s4, v11
	s_delay_alu instid0(VALU_DEP_1)
	v_add_co_ci_u32_e64 v12, s1, s5, v12, s1
	global_load_b64 v[11:12], v[11:12], off
.LBB0_21:
	s_or_b32 exec_lo, exec_lo, s9
	v_mov_b32_e32 v14, 0
	s_and_saveexec_b32 s9, s0
	s_cbranch_execz .LBB0_23
; %bb.22:
	v_dual_mov_b32 v15, 0 :: v_dual_add_nc_u32 v14, 40, v38
	s_delay_alu instid0(VALU_DEP_1) | instskip(NEXT) | instid1(VALU_DEP_1)
	v_mul_lo_u32 v14, s16, v14
	v_add3_u32 v14, v3, v13, v14
	s_delay_alu instid0(VALU_DEP_1) | instskip(NEXT) | instid1(VALU_DEP_1)
	v_lshlrev_b64 v[14:15], 3, v[14:15]
	v_add_co_u32 v14, s1, s4, v14
	s_delay_alu instid0(VALU_DEP_1)
	v_add_co_ci_u32_e64 v15, s1, s5, v15, s1
	global_load_b64 v[14:15], v[14:15], off
.LBB0_23:
	s_or_b32 exec_lo, exec_lo, s9
	v_dual_mov_b32 v19, 0 :: v_dual_mov_b32 v16, 0
	v_or_b32_e32 v39, 48, v38
	v_mov_b32_e32 v17, 0
	s_and_saveexec_b32 s9, s0
	s_cbranch_execz .LBB0_25
; %bb.24:
	s_delay_alu instid0(VALU_DEP_2) | instskip(SKIP_1) | instid1(VALU_DEP_2)
	v_mul_lo_u32 v16, s16, v39
	v_mov_b32_e32 v17, 0
	v_add3_u32 v16, v3, v13, v16
	s_delay_alu instid0(VALU_DEP_1) | instskip(NEXT) | instid1(VALU_DEP_1)
	v_lshlrev_b64 v[16:17], 3, v[16:17]
	v_add_co_u32 v16, s1, s4, v16
	s_delay_alu instid0(VALU_DEP_1)
	v_add_co_ci_u32_e64 v17, s1, s5, v17, s1
	global_load_b64 v[16:17], v[16:17], off
.LBB0_25:
	s_or_b32 exec_lo, exec_lo, s9
	v_mov_b32_e32 v18, 0
	s_and_saveexec_b32 s9, s0
	s_cbranch_execz .LBB0_27
; %bb.26:
	v_dual_mov_b32 v19, 0 :: v_dual_add_nc_u32 v18, 56, v38
	s_delay_alu instid0(VALU_DEP_1) | instskip(NEXT) | instid1(VALU_DEP_1)
	v_mul_lo_u32 v18, s16, v18
	v_add3_u32 v18, v3, v13, v18
	s_delay_alu instid0(VALU_DEP_1) | instskip(NEXT) | instid1(VALU_DEP_1)
	v_lshlrev_b64 v[18:19], 3, v[18:19]
	v_add_co_u32 v18, s1, s4, v18
	s_delay_alu instid0(VALU_DEP_1)
	v_add_co_ci_u32_e64 v19, s1, s5, v19, s1
	global_load_b64 v[18:19], v[18:19], off
.LBB0_27:
	s_or_b32 exec_lo, exec_lo, s9
	v_dual_mov_b32 v23, 0 :: v_dual_mov_b32 v20, 0
	v_mov_b32_e32 v21, 0
	s_and_saveexec_b32 s9, s0
	s_cbranch_execz .LBB0_29
; %bb.28:
	v_or_b32_e32 v20, 64, v38
	v_mov_b32_e32 v21, 0
	s_delay_alu instid0(VALU_DEP_2) | instskip(NEXT) | instid1(VALU_DEP_1)
	v_mul_lo_u32 v20, s16, v20
	v_add3_u32 v20, v3, v13, v20
	s_delay_alu instid0(VALU_DEP_1) | instskip(NEXT) | instid1(VALU_DEP_1)
	v_lshlrev_b64 v[20:21], 3, v[20:21]
	v_add_co_u32 v20, s1, s4, v20
	s_delay_alu instid0(VALU_DEP_1)
	v_add_co_ci_u32_e64 v21, s1, s5, v21, s1
	global_load_b64 v[20:21], v[20:21], off
.LBB0_29:
	s_or_b32 exec_lo, exec_lo, s9
	v_mov_b32_e32 v22, 0
	s_and_saveexec_b32 s9, s0
	s_cbranch_execz .LBB0_31
; %bb.30:
	v_dual_mov_b32 v23, 0 :: v_dual_add_nc_u32 v22, 0x48, v38
	s_delay_alu instid0(VALU_DEP_1) | instskip(NEXT) | instid1(VALU_DEP_1)
	v_mul_lo_u32 v22, s16, v22
	v_add3_u32 v22, v3, v13, v22
	s_delay_alu instid0(VALU_DEP_1) | instskip(NEXT) | instid1(VALU_DEP_1)
	v_lshlrev_b64 v[22:23], 3, v[22:23]
	v_add_co_u32 v22, s1, s4, v22
	s_delay_alu instid0(VALU_DEP_1)
	v_add_co_ci_u32_e64 v23, s1, s5, v23, s1
	global_load_b64 v[22:23], v[22:23], off
.LBB0_31:
	s_or_b32 exec_lo, exec_lo, s9
	v_dual_mov_b32 v25, 0 :: v_dual_mov_b32 v26, 0
	v_mov_b32_e32 v27, 0
	s_and_saveexec_b32 s9, s0
	s_cbranch_execz .LBB0_33
; %bb.32:
	v_or_b32_e32 v24, 0x50, v38
	v_mov_b32_e32 v27, 0
	s_delay_alu instid0(VALU_DEP_2) | instskip(NEXT) | instid1(VALU_DEP_1)
	v_mul_lo_u32 v24, s16, v24
	v_add3_u32 v26, v3, v13, v24
	s_delay_alu instid0(VALU_DEP_1) | instskip(NEXT) | instid1(VALU_DEP_1)
	v_lshlrev_b64 v[26:27], 3, v[26:27]
	v_add_co_u32 v26, s1, s4, v26
	s_delay_alu instid0(VALU_DEP_1)
	v_add_co_ci_u32_e64 v27, s1, s5, v27, s1
	global_load_b64 v[26:27], v[26:27], off
.LBB0_33:
	;; [unrolled: 34-line block ×3, first 2 shown]
	s_or_b32 exec_lo, exec_lo, s9
	v_mov_b32_e32 v30, 0
	s_and_saveexec_b32 s9, s0
	s_cbranch_execz .LBB0_39
; %bb.38:
	v_dual_mov_b32 v31, 0 :: v_dual_add_nc_u32 v30, 0x68, v38
	s_delay_alu instid0(VALU_DEP_1) | instskip(NEXT) | instid1(VALU_DEP_1)
	v_mul_lo_u32 v30, s16, v30
	v_add3_u32 v30, v3, v13, v30
	s_delay_alu instid0(VALU_DEP_1) | instskip(NEXT) | instid1(VALU_DEP_1)
	v_lshlrev_b64 v[30:31], 3, v[30:31]
	v_add_co_u32 v30, s1, s4, v30
	s_delay_alu instid0(VALU_DEP_1)
	v_add_co_ci_u32_e64 v31, s1, s5, v31, s1
	global_load_b64 v[30:31], v[30:31], off
.LBB0_39:
	s_or_b32 exec_lo, exec_lo, s9
	v_dual_mov_b32 v33, 0 :: v_dual_mov_b32 v34, 0
	v_or_b32_e32 v40, 0x70, v38
	v_mov_b32_e32 v35, 0
	s_and_saveexec_b32 s9, s0
	s_cbranch_execz .LBB0_41
; %bb.40:
	s_delay_alu instid0(VALU_DEP_2) | instskip(SKIP_1) | instid1(VALU_DEP_2)
	v_mul_lo_u32 v32, s16, v40
	v_mov_b32_e32 v35, 0
	v_add3_u32 v34, v3, v13, v32
	s_delay_alu instid0(VALU_DEP_1) | instskip(NEXT) | instid1(VALU_DEP_1)
	v_lshlrev_b64 v[34:35], 3, v[34:35]
	v_add_co_u32 v34, s1, s4, v34
	s_delay_alu instid0(VALU_DEP_1)
	v_add_co_ci_u32_e64 v35, s1, s5, v35, s1
	global_load_b64 v[34:35], v[34:35], off
.LBB0_41:
	s_or_b32 exec_lo, exec_lo, s9
	v_mov_b32_e32 v32, 0
	s_and_saveexec_b32 s1, s0
	s_cbranch_execz .LBB0_43
; %bb.42:
	v_dual_mov_b32 v33, 0 :: v_dual_add_nc_u32 v32, 0x78, v38
	s_delay_alu instid0(VALU_DEP_1) | instskip(NEXT) | instid1(VALU_DEP_1)
	v_mul_lo_u32 v32, s16, v32
	v_add3_u32 v32, v3, v13, v32
	s_delay_alu instid0(VALU_DEP_1) | instskip(NEXT) | instid1(VALU_DEP_1)
	v_lshlrev_b64 v[32:33], 3, v[32:33]
	v_add_co_u32 v32, s0, s4, v32
	s_delay_alu instid0(VALU_DEP_1)
	v_add_co_ci_u32_e64 v33, s0, s5, v33, s0
	global_load_b64 v[32:33], v[32:33], off
.LBB0_43:
	s_or_b32 exec_lo, exec_lo, s1
	v_lshlrev_b32_e32 v13, 3, v37
	s_mov_b32 s1, exec_lo
	v_cmpx_gt_u32_e32 0x80, v0
	s_cbranch_execz .LBB0_45
; %bb.44:
	s_waitcnt vmcnt(0)
	v_dual_sub_f32 v0, v8, v27 :: v_dual_sub_f32 v21, v2, v21
	v_dual_sub_f32 v27, v16, v34 :: v_dual_sub_f32 v28, v11, v28
	v_sub_f32_e32 v25, v10, v25
	v_dual_sub_f32 v32, v18, v32 :: v_dual_sub_f32 v35, v17, v35
	s_delay_alu instid0(VALU_DEP_3) | instskip(SKIP_4) | instid1(VALU_DEP_3)
	v_sub_f32_e32 v34, v0, v27
	v_dual_sub_f32 v23, v6, v23 :: v_dual_sub_f32 v26, v7, v26
	v_dual_sub_f32 v30, v14, v30 :: v_dual_sub_f32 v41, v21, v28
	;; [unrolled: 1-line block ×5, first 2 shown]
	s_delay_alu instid0(VALU_DEP_3) | instskip(NEXT) | instid1(VALU_DEP_3)
	v_dual_fmamk_f32 v44, v34, 0x3f3504f3, v41 :: v_dual_add_f32 v47, v24, v33
	v_dual_add_f32 v48, v22, v31 :: v_dual_sub_f32 v29, v12, v29
	v_dual_add_f32 v45, v26, v35 :: v_dual_sub_f32 v20, v1, v20
	s_delay_alu instid0(VALU_DEP_2) | instskip(SKIP_1) | instid1(VALU_DEP_4)
	v_dual_fmamk_f32 v46, v42, 0x3f3504f3, v43 :: v_dual_fmamk_f32 v49, v47, 0x3f3504f3, v48
	v_fma_f32 v52, v2, 2.0, -v21
	v_fma_f32 v2, v12, 2.0, -v29
	s_delay_alu instid0(VALU_DEP_4)
	v_add_f32_e32 v50, v20, v29
	v_fma_f32 v29, v7, 2.0, -v26
	v_fmac_f32_e32 v49, 0x3f3504f3, v42
	v_fma_f32 v7, v16, 2.0, -v27
	v_fmac_f32_e32 v44, 0xbf3504f3, v45
	v_fma_f32 v16, v6, 2.0, -v23
	v_fma_f32 v6, v15, 2.0, -v31
	v_fmac_f32_e32 v46, 0xbf3504f3, v47
	v_fma_f32 v9, v9, 2.0, -v24
	v_fma_f32 v12, v18, 2.0, -v32
	v_sub_f32_e32 v18, v52, v2
	v_sub_f32_e32 v31, v16, v6
	;; [unrolled: 1-line block ×3, first 2 shown]
	v_fmamk_f32 v3, v46, 0x3f6c835e, v44
	v_sub_f32_e32 v7, v9, v12
	v_fma_f32 v32, v10, 2.0, -v25
	v_fma_f32 v6, v19, 2.0, -v33
	v_fmamk_f32 v51, v45, 0x3f3504f3, v50
	v_fma_f32 v12, v8, 2.0, -v0
	v_fma_f32 v53, v21, 2.0, -v41
	;; [unrolled: 1-line block ×3, first 2 shown]
	v_fmac_f32_e32 v3, 0xbec3ef15, v49
	v_fma_f32 v10, v5, 2.0, -v22
	v_fma_f32 v5, v14, 2.0, -v30
	v_sub_f32_e32 v14, v18, v27
	v_dual_sub_f32 v19, v31, v7 :: v_dual_sub_f32 v30, v32, v6
	v_fma_f32 v21, v24, 2.0, -v47
	v_fmamk_f32 v24, v0, 0xbf3504f3, v53
	s_delay_alu instid0(VALU_DEP_3) | instskip(SKIP_3) | instid1(VALU_DEP_4)
	v_dual_fmac_f32 v51, 0x3f3504f3, v34 :: v_dual_fmamk_f32 v8, v19, 0x3f3504f3, v14
	v_sub_f32_e32 v33, v10, v5
	v_fma_f32 v5, v17, 2.0, -v35
	v_fma_f32 v17, v1, 2.0, -v20
	v_fmamk_f32 v2, v49, 0x3f6c835e, v51
	v_fma_f32 v1, v26, 2.0, -v45
	v_fma_f32 v22, v22, 2.0, -v48
	v_fma_f32 v11, v11, 2.0, -v28
	v_add_f32_e32 v35, v33, v30
	v_sub_f32_e32 v15, v12, v5
	v_fma_f32 v26, v23, 2.0, -v43
	v_fmamk_f32 v28, v21, 0xbf3504f3, v22
	v_fma_f32 v5, v25, 2.0, -v42
	v_fmac_f32_e32 v24, 0xbf3504f3, v1
	v_sub_f32_e32 v42, v17, v11
	v_fma_f32 v20, v20, 2.0, -v50
	v_fma_f32 v47, v52, 2.0, -v18
	v_fmac_f32_e32 v28, 0x3f3504f3, v5
	v_fma_f32 v11, v12, 2.0, -v15
	v_add_f32_e32 v45, v42, v15
	v_fmamk_f32 v25, v5, 0xbf3504f3, v26
	v_fmac_f32_e32 v2, 0x3ec3ef15, v46
	v_fma_f32 v52, v10, 2.0, -v33
	v_sub_f32_e32 v54, v47, v11
	s_delay_alu instid0(VALU_DEP_4)
	v_dual_fmamk_f32 v34, v1, 0xbf3504f3, v20 :: v_dual_fmac_f32 v25, 0xbf3504f3, v21
	v_fma_f32 v9, v9, 2.0, -v7
	v_fmamk_f32 v7, v35, 0x3f3504f3, v45
	v_fma_f32 v23, v41, 2.0, -v44
	v_fma_f32 v41, v43, 2.0, -v46
	;; [unrolled: 1-line block ×7, first 2 shown]
	v_dual_fmac_f32 v34, 0x3f3504f3, v0 :: v_dual_sub_f32 v9, v52, v9
	v_fmac_f32_e32 v8, 0xbf3504f3, v35
	v_dual_fmamk_f32 v1, v25, 0x3ec3ef15, v24 :: v_dual_sub_f32 v44, v43, v21
	v_dual_fmac_f32 v7, 0x3f3504f3, v19 :: v_dual_sub_f32 v32, v29, v16
	v_fma_f32 v27, v48, 2.0, -v49
	v_fma_f32 v30, v50, 2.0, -v51
	v_fmamk_f32 v17, v41, 0xbec3ef15, v23
	v_fma_f32 v18, v18, 2.0, -v14
	v_fma_f32 v31, v31, 2.0, -v19
	s_delay_alu instid0(VALU_DEP_4)
	v_dual_sub_f32 v15, v54, v9 :: v_dual_fmamk_f32 v16, v27, 0xbec3ef15, v30
	v_fma_f32 v10, v14, 2.0, -v8
	v_dual_fmac_f32 v17, 0xbf6c835e, v27 :: v_dual_add_f32 v14, v44, v32
	v_fma_f32 v27, v33, 2.0, -v35
	v_fma_f32 v20, v20, 2.0, -v34
	v_fmac_f32_e32 v1, 0xbf6c835e, v28
	v_fma_f32 v29, v29, 2.0, -v32
	v_fmamk_f32 v0, v28, 0x3ec3ef15, v34
	v_fma_f32 v28, v22, 2.0, -v28
	v_fma_f32 v32, v43, 2.0, -v44
	;; [unrolled: 1-line block ×3, first 2 shown]
	v_fmamk_f32 v19, v31, 0xbf3504f3, v18
	v_fma_f32 v35, v42, 2.0, -v45
	v_fma_f32 v33, v26, 2.0, -v25
	v_fmamk_f32 v26, v28, 0xbf6c835e, v20
	v_fma_f32 v12, v24, 2.0, -v1
	v_fmac_f32_e32 v19, 0xbf3504f3, v27
	v_fma_f32 v24, v53, 2.0, -v24
	v_fmac_f32_e32 v0, 0x3f6c835e, v25
	v_fmac_f32_e32 v16, 0x3f6c835e, v41
	;; [unrolled: 1-line block ×3, first 2 shown]
	v_fma_f32 v25, v18, 2.0, -v19
	v_fmamk_f32 v18, v27, 0xbf3504f3, v35
	v_fmamk_f32 v27, v33, 0xbf6c835e, v24
	v_fma_f32 v22, v30, 2.0, -v16
	v_fma_f32 v30, v20, 2.0, -v26
	v_fma_f32 v23, v23, 2.0, -v17
	v_fmac_f32_e32 v18, 0x3f3504f3, v31
	v_dual_fmac_f32 v27, 0xbec3ef15, v28 :: v_dual_sub_f32 v28, v32, v9
	v_lshlrev_b32_e32 v9, 11, v38
	v_fma_f32 v11, v34, 2.0, -v0
	v_fma_f32 v34, v47, 2.0, -v54
	s_delay_alu instid0(VALU_DEP_4)
	v_fma_f32 v31, v24, 2.0, -v27
	v_fma_f32 v32, v32, 2.0, -v28
	;; [unrolled: 1-line block ×4, first 2 shown]
	v_sub_f32_e32 v29, v34, v29
	v_fma_f32 v20, v44, 2.0, -v14
	v_fma_f32 v5, v51, 2.0, -v2
	s_delay_alu instid0(VALU_DEP_3)
	v_fma_f32 v33, v34, 2.0, -v29
	v_add3_u32 v34, 0, v9, v13
	v_fma_f32 v9, v45, 2.0, -v7
	ds_store_2addr_b64 v34, v[32:33], v[30:31] offset1:16
	ds_store_2addr_b64 v34, v[24:25], v[22:23] offset0:32 offset1:48
	ds_store_2addr_b64 v34, v[20:21], v[11:12] offset0:64 offset1:80
	;; [unrolled: 1-line block ×7, first 2 shown]
.LBB0_45:
	s_or_b32 exec_lo, exec_lo, s1
	s_or_b32 s0, s3, vcc_lo
	s_waitcnt vmcnt(0) lgkmcnt(0)
	s_barrier
	buffer_gl0_inv
	s_and_saveexec_b32 s1, s0
	s_cbranch_execz .LBB0_47
; %bb.46:
	v_mul_u32_u24_e32 v0, 7, v38
	v_or_b32_e32 v81, 0x60, v38
	v_or_b32_e32 v77, 32, v38
	v_mul_lo_u32 v14, v4, v40
	v_or_b32_e32 v79, 0x50, v38
	v_lshlrev_b32_e32 v9, 3, v0
	v_or_b32_e32 v80, 64, v38
	v_or_b32_e32 v16, 16, v38
	v_mul_lo_u32 v15, v4, v39
	v_mul_lo_u32 v17, v4, v38
	s_clause 0x1
	global_load_b128 v[5:8], v9, s[24:25]
	global_load_b128 v[0:3], v9, s[24:25] offset:16
	v_mul_lo_u32 v18, v4, v81
	v_mul_lo_u32 v35, v4, v77
	;; [unrolled: 1-line block ×5, first 2 shown]
	v_and_b32_e32 v23, 0xff, v14
	v_lshrrev_b32_e32 v24, 5, v14
	v_and_b32_e32 v25, 0xff, v15
	v_lshrrev_b32_e32 v26, 5, v15
	v_and_b32_e32 v31, 0xff, v17
	s_clause 0x1
	global_load_b64 v[21:22], v9, s[24:25] offset:48
	global_load_b128 v[9:12], v9, s[24:25] offset:32
	v_and_b32_e32 v32, 0xff, v18
	v_and_b32_e32 v44, 0xff, v35
	v_lshrrev_b32_e32 v14, 13, v14
	v_lshlrev_b32_e32 v23, 3, v23
	v_lshrrev_b32_e32 v33, 5, v18
	v_lshrrev_b32_e32 v45, 5, v35
	v_and_b32_e32 v27, 0x7f8, v24
	v_and_b32_e32 v34, 0xff, v19
	;; [unrolled: 1-line block ×3, first 2 shown]
	v_lshrrev_b32_e32 v41, 5, v19
	v_lshlrev_b32_e32 v28, 3, v25
	v_lshrrev_b32_e32 v50, 5, v4
	s_movk_i32 s0, 0x7f8
	v_lshrrev_b32_e32 v49, 5, v17
	v_and_b32_e32 v42, 0xff, v20
	v_lshrrev_b32_e32 v43, 5, v20
	v_and_b32_e32 v29, 0x7f8, v26
	v_lshlrev_b32_e32 v57, 3, v31
	v_lshlrev_b32_e32 v31, 3, v32
	;; [unrolled: 1-line block ×3, first 2 shown]
	v_and_or_b32 v14, v14, s0, 0x1000
	v_lshrrev_b32_e32 v15, 13, v15
	s_clause 0x3
	global_load_b64 v[23:24], v23, s[12:13]
	global_load_b64 v[25:26], v27, s[12:13] offset:2048
	global_load_b64 v[27:28], v28, s[12:13]
	global_load_b64 v[29:30], v29, s[12:13] offset:2048
	v_and_b32_e32 v33, 0x7f8, v33
	v_and_b32_e32 v54, 0x7f8, v45
	v_lshlrev_b32_e32 v47, 3, v34
	v_lshlrev_b32_e32 v55, 3, v46
	v_and_b32_e32 v48, 0x7f8, v41
	v_and_b32_e32 v56, 0x7f8, v50
	v_lshlrev_b32_e32 v51, 3, v42
	v_and_b32_e32 v52, 0x7f8, v43
	v_and_b32_e32 v59, 0x7f8, v49
	s_clause 0xc
	global_load_b64 v[31:32], v31, s[12:13]
	global_load_b64 v[33:34], v33, s[12:13] offset:2048
	global_load_b64 v[41:42], v47, s[12:13]
	global_load_b64 v[43:44], v48, s[12:13] offset:2048
	;; [unrolled: 2-line block ×6, first 2 shown]
	global_load_b64 v[61:62], v14, s[12:13]
	v_and_or_b32 v14, v15, s0, 0x1000
	v_lshrrev_b32_e32 v15, 13, v19
	v_lshrrev_b32_e32 v19, 13, v35
	;; [unrolled: 1-line block ×3, first 2 shown]
	v_mul_lo_u32 v82, s10, v37
	global_load_b64 v[63:64], v14, s[12:13]
	v_lshrrev_b32_e32 v14, 13, v18
	v_and_or_b32 v15, v15, s0, 0x1000
	v_lshrrev_b32_e32 v18, 13, v20
	v_and_or_b32 v4, v4, s0, 0x1000
	v_mul_lo_u32 v35, s8, v38
	v_and_or_b32 v14, v14, s0, 0x1000
	s_clause 0x1
	global_load_b64 v[65:66], v14, s[12:13]
	global_load_b64 v[67:68], v15, s[12:13]
	v_lshrrev_b32_e32 v14, 13, v17
	v_and_or_b32 v18, v18, s0, 0x1000
	v_and_or_b32 v15, v19, s0, 0x1000
	v_mul_lo_u32 v85, s8, v77
	s_delay_alu instid0(VALU_DEP_4)
	v_and_or_b32 v14, v14, s0, 0x1000
	s_clause 0x3
	global_load_b64 v[69:70], v18, s[12:13]
	global_load_b64 v[71:72], v15, s[12:13]
	;; [unrolled: 1-line block ×4, first 2 shown]
	v_lshlrev_b32_e32 v4, 7, v38
	s_load_b64 s[0:1], s[14:15], 0x0
	s_delay_alu instid0(VALU_DEP_1)
	v_add3_u32 v83, 0, v4, v13
	v_mul_lo_u32 v4, s8, v16
	ds_load_2addr_stride64_b64 v[13:16], v83 offset0:8 offset1:12
	ds_load_2addr_stride64_b64 v[17:20], v83 offset1:4
	s_waitcnt lgkmcnt(0)
	s_mul_i32 s0, s0, s2
	s_waitcnt vmcnt(26)
	v_dual_mul_f32 v86, v8, v14 :: v_dual_mul_f32 v89, v1, v16
	v_mul_f32_e32 v87, v6, v19
	v_mul_f32_e32 v88, v6, v20
	;; [unrolled: 1-line block ×3, first 2 shown]
	s_delay_alu instid0(VALU_DEP_4)
	v_dual_fmac_f32 v86, v7, v13 :: v_dual_fmac_f32 v89, v0, v15
	v_add_nc_u32_e32 v84, s0, v36
	v_mov_b32_e32 v36, 0
	v_fma_f32 v8, v5, v20, -v87
	v_fmac_f32_e32 v88, v5, v19
	v_fma_f32 v87, v7, v14, -v6
	v_add3_u32 v35, v82, v35, v84
	v_mul_f32_e32 v1, v1, v15
	s_delay_alu instid0(VALU_DEP_2) | instskip(SKIP_3) | instid1(VALU_DEP_3)
	v_lshlrev_b64 v[37:38], 3, v[35:36]
	v_add3_u32 v35, v82, v4, v84
	v_mul_lo_u32 v4, s8, v39
	v_mul_lo_u32 v39, s8, v80
	v_lshlrev_b64 v[77:78], 3, v[35:36]
	v_add3_u32 v35, v82, v85, v84
	v_mul_lo_u32 v85, s8, v79
	s_delay_alu instid0(VALU_DEP_2)
	v_lshlrev_b64 v[79:80], 3, v[35:36]
	v_add3_u32 v35, v82, v4, v84
	ds_load_2addr_stride64_b64 v[4:7], v83 offset0:16 offset1:20
	v_lshlrev_b64 v[13:14], 3, v[35:36]
	v_add3_u32 v35, v82, v39, v84
	v_mul_lo_u32 v39, s8, v81
	v_fma_f32 v81, v0, v16, -v1
	v_mul_lo_u32 v0, s8, v40
	s_delay_alu instid0(VALU_DEP_4) | instskip(SKIP_1) | instid1(VALU_DEP_1)
	v_lshlrev_b64 v[15:16], 3, v[35:36]
	v_add3_u32 v35, v82, v85, v84
	v_lshlrev_b64 v[19:20], 3, v[35:36]
	v_add3_u32 v35, v82, v39, v84
	s_delay_alu instid0(VALU_DEP_1) | instskip(SKIP_4) | instid1(VALU_DEP_3)
	v_lshlrev_b64 v[39:40], 3, v[35:36]
	v_add3_u32 v35, v82, v0, v84
	s_waitcnt lgkmcnt(0)
	v_mul_f32_e32 v0, v3, v4
	v_mul_f32_e32 v82, v3, v5
	v_lshlrev_b64 v[35:36], 3, v[35:36]
	s_delay_alu instid0(VALU_DEP_3) | instskip(NEXT) | instid1(VALU_DEP_3)
	v_fma_f32 v84, v2, v5, -v0
	v_fmac_f32_e32 v82, v2, v4
	ds_load_2addr_stride64_b64 v[0:3], v83 offset0:24 offset1:28
	v_add_co_u32 v4, vcc_lo, s6, v37
	v_add_co_ci_u32_e32 v5, vcc_lo, s7, v38, vcc_lo
	v_add_co_u32 v37, vcc_lo, s6, v77
	v_add_co_ci_u32_e32 v38, vcc_lo, s7, v78, vcc_lo
	v_add_co_u32 v77, vcc_lo, s6, v79
	s_waitcnt vmcnt(24)
	v_mul_f32_e32 v79, v10, v6
	v_mul_f32_e32 v10, v10, v7
	v_add_co_ci_u32_e32 v78, vcc_lo, s7, v80, vcc_lo
	v_add_co_u32 v13, vcc_lo, s6, v13
	s_delay_alu instid0(VALU_DEP_4) | instskip(NEXT) | instid1(VALU_DEP_4)
	v_fma_f32 v7, v9, v7, -v79
	v_fmac_f32_e32 v10, v9, v6
	v_add_co_ci_u32_e32 v14, vcc_lo, s7, v14, vcc_lo
	s_waitcnt lgkmcnt(0)
	v_dual_mul_f32 v6, v1, v12 :: v_dual_mul_f32 v9, v3, v22
	v_mul_f32_e32 v22, v2, v22
	v_mul_f32_e32 v12, v12, v0
	v_sub_f32_e32 v10, v88, v10
	s_delay_alu instid0(VALU_DEP_4) | instskip(NEXT) | instid1(VALU_DEP_4)
	v_dual_fmac_f32 v6, v11, v0 :: v_dual_fmac_f32 v9, v2, v21
	v_fma_f32 v0, v3, v21, -v22
	s_delay_alu instid0(VALU_DEP_4)
	v_fma_f32 v1, v1, v11, -v12
	s_waitcnt vmcnt(22)
	v_mul_f32_e32 v2, v24, v26
	v_mul_f32_e32 v3, v23, v26
	s_waitcnt vmcnt(20)
	v_mul_f32_e32 v12, v27, v30
	v_dual_sub_f32 v0, v81, v0 :: v_dual_sub_f32 v1, v87, v1
	v_fma_f32 v2, v23, v25, -v2
	s_waitcnt vmcnt(18)
	v_mul_f32_e32 v23, v32, v34
	v_fmac_f32_e32 v3, v24, v25
	v_mul_f32_e32 v11, v28, v30
	v_dual_sub_f32 v21, v18, v84 :: v_dual_sub_f32 v22, v17, v82
	s_waitcnt vmcnt(16)
	v_mul_f32_e32 v25, v42, v44
	v_mul_f32_e32 v26, v41, v44
	v_dual_fmac_f32 v12, v28, v29 :: v_dual_add_f32 v79, v10, v0
	v_sub_f32_e32 v6, v86, v6
	v_fma_f32 v0, v81, 2.0, -v0
	s_waitcnt vmcnt(7)
	v_mul_f32_e32 v81, v3, v62
	v_mul_f32_e32 v62, v2, v62
	v_fma_f32 v23, v31, v33, -v23
	v_dual_mul_f32 v44, v53, v56 :: v_dual_sub_f32 v7, v8, v7
	v_dual_sub_f32 v9, v89, v9 :: v_dual_mul_f32 v24, v31, v34
	v_fma_f32 v11, v27, v29, -v11
	v_mul_f32_e32 v29, v54, v56
	v_mul_f32_e32 v27, v50, v52
	v_fma_f32 v18, v18, 2.0, -v21
	v_add_f32_e32 v80, v22, v1
	v_fma_f32 v1, v87, 2.0, -v1
	v_mul_f32_e32 v34, v45, v48
	v_fma_f32 v82, v88, 2.0, -v10
	s_waitcnt vmcnt(6)
	v_dual_fmac_f32 v26, v42, v43 :: v_dual_mul_f32 v31, v12, v64
	v_sub_f32_e32 v56, v21, v6
	v_mul_f32_e32 v30, v46, v48
	v_fma_f32 v10, v10, 2.0, -v79
	s_waitcnt vmcnt(5)
	v_dual_fmac_f32 v62, v61, v3 :: v_dual_mul_f32 v3, v23, v66
	v_fmac_f32_e32 v44, v54, v55
	v_mul_f32_e32 v48, v58, v60
	v_mul_f32_e32 v28, v49, v52
	v_fmac_f32_e32 v24, v32, v33
	v_fma_f32 v27, v49, v51, -v27
	v_sub_f32_e32 v1, v18, v1
	v_fmac_f32_e32 v34, v46, v47
	v_mul_f32_e32 v52, v57, v60
	v_sub_f32_e32 v60, v7, v9
	v_fma_f32 v9, v89, 2.0, -v9
	s_waitcnt vmcnt(1)
	v_mul_f32_e32 v49, v44, v74
	v_fma_f32 v33, v57, v59, -v48
	v_fma_f32 v25, v41, v43, -v25
	;; [unrolled: 1-line block ×3, first 2 shown]
	v_sub_f32_e32 v9, v82, v9
	v_fma_f32 v17, v17, 2.0, -v22
	s_waitcnt vmcnt(0)
	v_dual_mul_f32 v53, v76, v33 :: v_dual_fmac_f32 v28, v50, v51
	v_fma_f32 v6, v86, 2.0, -v6
	v_fma_f32 v8, v8, 2.0, -v7
	v_mul_f32_e32 v32, v11, v64
	v_mul_f32_e32 v46, v25, v68
	v_fma_f32 v31, v63, v11, -v31
	v_mul_f32_e32 v11, v28, v72
	v_fmamk_f32 v41, v60, 0x3f3504f3, v56
	v_fma_f32 v30, v45, v47, -v30
	v_fma_f32 v7, v7, 2.0, -v60
	v_mul_f32_e32 v45, v26, v68
	v_fma_f32 v21, v21, 2.0, -v56
	v_fmac_f32_e32 v41, 0xbf3504f3, v79
	v_fmac_f32_e32 v3, v65, v24
	v_sub_f32_e32 v6, v17, v6
	v_mul_f32_e32 v47, v34, v70
	v_fmamk_f32 v57, v7, 0xbf3504f3, v21
	v_fmac_f32_e32 v46, v67, v26
	v_sub_f32_e32 v0, v8, v0
	v_fmac_f32_e32 v52, v59, v58
	v_mul_f32_e32 v50, v29, v74
	v_fmac_f32_e32 v57, 0xbf3504f3, v10
	v_fma_f32 v43, v61, v2, -v81
	v_add_f32_e32 v55, v6, v0
	v_mul_f32_e32 v51, v76, v52
	v_fma_f32 v22, v22, 2.0, -v80
	v_fmac_f32_e32 v50, v73, v44
	v_sub_f32_e32 v54, v1, v9
	v_fma_f32 v9, v82, 2.0, -v9
	v_mul_f32_e32 v2, v24, v66
	v_fmamk_f32 v58, v10, 0xbf3504f3, v22
	v_fma_f32 v18, v18, 2.0, -v1
	v_fma_f32 v24, v67, v25, -v45
	v_fma_f32 v25, v69, v30, -v47
	v_fma_f32 v44, v1, 2.0, -v54
	v_fmac_f32_e32 v58, 0x3f3504f3, v7
	v_mul_f32_e32 v7, v55, v3
	v_fma_f32 v59, v17, 2.0, -v6
	v_mul_f32_e32 v48, v30, v70
	v_fma_f32 v26, v71, v27, -v11
	v_fmac_f32_e32 v53, v75, v52
	v_fma_f32 v45, v6, 2.0, -v55
	v_dual_sub_f32 v30, v59, v9 :: v_dual_mul_f32 v9, v58, v46
	v_fma_f32 v8, v8, 2.0, -v0
	v_fmamk_f32 v42, v79, 0x3f3504f3, v80
	v_mul_f32_e32 v6, v57, v46
	v_add_co_u32 v15, vcc_lo, s6, v15
	v_add_co_ci_u32_e32 v16, vcc_lo, s7, v16, vcc_lo
	s_delay_alu instid0(VALU_DEP_4) | instskip(NEXT) | instid1(VALU_DEP_4)
	v_fmac_f32_e32 v42, 0x3f3504f3, v60
	v_fmac_f32_e32 v6, v58, v24
	v_add_co_u32 v19, vcc_lo, s6, v19
	v_add_co_ci_u32_e32 v20, vcc_lo, s7, v20, vcc_lo
	s_delay_alu instid0(VALU_DEP_4) | instskip(SKIP_3) | instid1(VALU_DEP_4)
	v_dual_mul_f32 v11, v42, v62 :: v_dual_fmac_f32 v32, v63, v12
	v_mul_f32_e32 v12, v27, v72
	v_fma_f32 v27, v73, v29, -v49
	v_sub_f32_e32 v29, v18, v8
	v_fma_f32 v1, v41, v43, -v11
	v_add_co_u32 v39, vcc_lo, s6, v39
	v_fmac_f32_e32 v12, v71, v28
	v_fma_f32 v28, v75, v33, -v51
	v_fma_f32 v33, v56, 2.0, -v41
	v_add_co_ci_u32_e32 v40, vcc_lo, s7, v40, vcc_lo
	s_delay_alu instid0(VALU_DEP_4) | instskip(SKIP_1) | instid1(VALU_DEP_4)
	v_dual_mul_f32 v17, v44, v12 :: v_dual_fmac_f32 v48, v69, v34
	v_fma_f32 v34, v80, 2.0, -v42
	v_mul_f32_e32 v10, v33, v32
	v_add_co_u32 v35, vcc_lo, s6, v35
	s_delay_alu instid0(VALU_DEP_4)
	v_fmac_f32_e32 v17, v45, v26
	v_dual_mul_f32 v11, v30, v48 :: v_dual_mul_f32 v0, v41, v62
	v_mul_f32_e32 v41, v34, v32
	v_fma_f32 v23, v65, v23, -v2
	v_mul_f32_e32 v2, v54, v3
	v_mul_f32_e32 v32, v45, v12
	v_fmac_f32_e32 v0, v42, v43
	v_fma_f32 v42, v22, 2.0, -v58
	v_fma_f32 v22, v18, 2.0, -v29
	;; [unrolled: 1-line block ×4, first 2 shown]
	v_mul_f32_e32 v8, v29, v48
	v_fma_f32 v3, v54, v23, -v7
	v_fma_f32 v7, v57, v24, -v9
	;; [unrolled: 1-line block ×3, first 2 shown]
	v_mul_f32_e32 v29, v43, v53
	v_dual_mul_f32 v21, v22, v53 :: v_dual_fmac_f32 v2, v55, v23
	v_mul_f32_e32 v24, v50, v42
	v_mul_f32_e32 v23, v50, v12
	s_delay_alu instid0(VALU_DEP_4) | instskip(NEXT) | instid1(VALU_DEP_4)
	v_fma_f32 v22, v22, v28, -v29
	v_fmac_f32_e32 v21, v43, v28
	v_fma_f32 v18, v44, v26, -v32
	v_fma_f32 v24, v27, v12, -v24
	v_fmac_f32_e32 v23, v27, v42
	v_fma_f32 v11, v33, v31, -v41
	v_fmac_f32_e32 v10, v34, v31
	v_fmac_f32_e32 v8, v30, v25
	v_add_co_ci_u32_e32 v36, vcc_lo, s7, v36, vcc_lo
	s_clause 0x7
	global_store_b64 v[4:5], v[21:22], off
	global_store_b64 v[37:38], v[23:24], off
	;; [unrolled: 1-line block ×8, first 2 shown]
.LBB0_47:
	s_nop 0
	s_sendmsg sendmsg(MSG_DEALLOC_VGPRS)
	s_endpgm
	.section	.rodata,"a",@progbits
	.p2align	6, 0x0
	.amdhsa_kernel fft_rtc_back_len128_factors_16_8_wgs_256_tpt_16_sp_op_CI_CI_sbcc_twdbase8_3step_dirReg_intrinsicReadWrite
		.amdhsa_group_segment_fixed_size 0
		.amdhsa_private_segment_fixed_size 0
		.amdhsa_kernarg_size 112
		.amdhsa_user_sgpr_count 15
		.amdhsa_user_sgpr_dispatch_ptr 0
		.amdhsa_user_sgpr_queue_ptr 0
		.amdhsa_user_sgpr_kernarg_segment_ptr 1
		.amdhsa_user_sgpr_dispatch_id 0
		.amdhsa_user_sgpr_private_segment_size 0
		.amdhsa_wavefront_size32 1
		.amdhsa_uses_dynamic_stack 0
		.amdhsa_enable_private_segment 0
		.amdhsa_system_sgpr_workgroup_id_x 1
		.amdhsa_system_sgpr_workgroup_id_y 0
		.amdhsa_system_sgpr_workgroup_id_z 0
		.amdhsa_system_sgpr_workgroup_info 0
		.amdhsa_system_vgpr_workitem_id 0
		.amdhsa_next_free_vgpr 90
		.amdhsa_next_free_sgpr 52
		.amdhsa_reserve_vcc 1
		.amdhsa_float_round_mode_32 0
		.amdhsa_float_round_mode_16_64 0
		.amdhsa_float_denorm_mode_32 3
		.amdhsa_float_denorm_mode_16_64 3
		.amdhsa_dx10_clamp 1
		.amdhsa_ieee_mode 1
		.amdhsa_fp16_overflow 0
		.amdhsa_workgroup_processor_mode 1
		.amdhsa_memory_ordered 1
		.amdhsa_forward_progress 0
		.amdhsa_shared_vgpr_count 0
		.amdhsa_exception_fp_ieee_invalid_op 0
		.amdhsa_exception_fp_denorm_src 0
		.amdhsa_exception_fp_ieee_div_zero 0
		.amdhsa_exception_fp_ieee_overflow 0
		.amdhsa_exception_fp_ieee_underflow 0
		.amdhsa_exception_fp_ieee_inexact 0
		.amdhsa_exception_int_div_zero 0
	.end_amdhsa_kernel
	.text
.Lfunc_end0:
	.size	fft_rtc_back_len128_factors_16_8_wgs_256_tpt_16_sp_op_CI_CI_sbcc_twdbase8_3step_dirReg_intrinsicReadWrite, .Lfunc_end0-fft_rtc_back_len128_factors_16_8_wgs_256_tpt_16_sp_op_CI_CI_sbcc_twdbase8_3step_dirReg_intrinsicReadWrite
                                        ; -- End function
	.section	.AMDGPU.csdata,"",@progbits
; Kernel info:
; codeLenInByte = 6408
; NumSgprs: 54
; NumVgprs: 90
; ScratchSize: 0
; MemoryBound: 0
; FloatMode: 240
; IeeeMode: 1
; LDSByteSize: 0 bytes/workgroup (compile time only)
; SGPRBlocks: 6
; VGPRBlocks: 11
; NumSGPRsForWavesPerEU: 54
; NumVGPRsForWavesPerEU: 90
; Occupancy: 16
; WaveLimiterHint : 1
; COMPUTE_PGM_RSRC2:SCRATCH_EN: 0
; COMPUTE_PGM_RSRC2:USER_SGPR: 15
; COMPUTE_PGM_RSRC2:TRAP_HANDLER: 0
; COMPUTE_PGM_RSRC2:TGID_X_EN: 1
; COMPUTE_PGM_RSRC2:TGID_Y_EN: 0
; COMPUTE_PGM_RSRC2:TGID_Z_EN: 0
; COMPUTE_PGM_RSRC2:TIDIG_COMP_CNT: 0
	.text
	.p2alignl 7, 3214868480
	.fill 96, 4, 3214868480
	.type	__hip_cuid_de000d0d75560524,@object ; @__hip_cuid_de000d0d75560524
	.section	.bss,"aw",@nobits
	.globl	__hip_cuid_de000d0d75560524
__hip_cuid_de000d0d75560524:
	.byte	0                               ; 0x0
	.size	__hip_cuid_de000d0d75560524, 1

	.ident	"AMD clang version 19.0.0git (https://github.com/RadeonOpenCompute/llvm-project roc-6.4.0 25133 c7fe45cf4b819c5991fe208aaa96edf142730f1d)"
	.section	".note.GNU-stack","",@progbits
	.addrsig
	.addrsig_sym __hip_cuid_de000d0d75560524
	.amdgpu_metadata
---
amdhsa.kernels:
  - .args:
      - .actual_access:  read_only
        .address_space:  global
        .offset:         0
        .size:           8
        .value_kind:     global_buffer
      - .address_space:  global
        .offset:         8
        .size:           8
        .value_kind:     global_buffer
      - .offset:         16
        .size:           8
        .value_kind:     by_value
      - .actual_access:  read_only
        .address_space:  global
        .offset:         24
        .size:           8
        .value_kind:     global_buffer
      - .actual_access:  read_only
        .address_space:  global
        .offset:         32
        .size:           8
        .value_kind:     global_buffer
      - .actual_access:  read_only
        .address_space:  global
        .offset:         40
        .size:           8
        .value_kind:     global_buffer
      - .offset:         48
        .size:           8
        .value_kind:     by_value
      - .actual_access:  read_only
        .address_space:  global
        .offset:         56
        .size:           8
        .value_kind:     global_buffer
      - .actual_access:  read_only
        .address_space:  global
        .offset:         64
        .size:           8
        .value_kind:     global_buffer
      - .offset:         72
        .size:           4
        .value_kind:     by_value
      - .actual_access:  read_only
        .address_space:  global
        .offset:         80
        .size:           8
        .value_kind:     global_buffer
      - .actual_access:  read_only
        .address_space:  global
        .offset:         88
        .size:           8
        .value_kind:     global_buffer
      - .actual_access:  read_only
        .address_space:  global
        .offset:         96
        .size:           8
        .value_kind:     global_buffer
      - .actual_access:  write_only
        .address_space:  global
        .offset:         104
        .size:           8
        .value_kind:     global_buffer
    .group_segment_fixed_size: 0
    .kernarg_segment_align: 8
    .kernarg_segment_size: 112
    .language:       OpenCL C
    .language_version:
      - 2
      - 0
    .max_flat_workgroup_size: 256
    .name:           fft_rtc_back_len128_factors_16_8_wgs_256_tpt_16_sp_op_CI_CI_sbcc_twdbase8_3step_dirReg_intrinsicReadWrite
    .private_segment_fixed_size: 0
    .sgpr_count:     54
    .sgpr_spill_count: 0
    .symbol:         fft_rtc_back_len128_factors_16_8_wgs_256_tpt_16_sp_op_CI_CI_sbcc_twdbase8_3step_dirReg_intrinsicReadWrite.kd
    .uniform_work_group_size: 1
    .uses_dynamic_stack: false
    .vgpr_count:     90
    .vgpr_spill_count: 0
    .wavefront_size: 32
    .workgroup_processor_mode: 1
amdhsa.target:   amdgcn-amd-amdhsa--gfx1100
amdhsa.version:
  - 1
  - 2
...

	.end_amdgpu_metadata
